;; amdgpu-corpus repo=ROCm/rocFFT kind=compiled arch=gfx1100 opt=O3
	.text
	.amdgcn_target "amdgcn-amd-amdhsa--gfx1100"
	.amdhsa_code_object_version 6
	.protected	bluestein_single_back_len250_dim1_sp_op_CI_CI ; -- Begin function bluestein_single_back_len250_dim1_sp_op_CI_CI
	.globl	bluestein_single_back_len250_dim1_sp_op_CI_CI
	.p2align	8
	.type	bluestein_single_back_len250_dim1_sp_op_CI_CI,@function
bluestein_single_back_len250_dim1_sp_op_CI_CI: ; @bluestein_single_back_len250_dim1_sp_op_CI_CI
; %bb.0:
	s_load_b128 s[16:19], s[0:1], 0x28
	v_mul_u32_u24_e32 v1, 0xa3e, v0
	s_mov_b32 s2, exec_lo
	s_delay_alu instid0(VALU_DEP_1) | instskip(NEXT) | instid1(VALU_DEP_1)
	v_lshrrev_b32_e32 v1, 16, v1
	v_mad_u64_u32 v[36:37], null, s15, 5, v[1:2]
	v_mov_b32_e32 v37, 0
	s_waitcnt lgkmcnt(0)
	s_delay_alu instid0(VALU_DEP_1)
	v_cmpx_gt_u64_e64 s[16:17], v[36:37]
	s_cbranch_execz .LBB0_2
; %bb.1:
	s_clause 0x1
	s_load_b128 s[4:7], s[0:1], 0x18
	s_load_b128 s[8:11], s[0:1], 0x0
	v_mul_lo_u16 v1, v1, 25
	s_load_b64 s[0:1], s[0:1], 0x38
	s_delay_alu instid0(VALU_DEP_1) | instskip(NEXT) | instid1(VALU_DEP_1)
	v_sub_nc_u16 v0, v0, v1
	v_and_b32_e32 v57, 0xffff, v0
	s_waitcnt lgkmcnt(0)
	s_load_b128 s[12:15], s[4:5], 0x0
	s_add_u32 s2, s8, 0x7d0
	s_addc_u32 s3, s9, 0
	s_waitcnt lgkmcnt(0)
	v_mad_u64_u32 v[1:2], null, s14, v36, 0
	v_mad_u64_u32 v[3:4], null, s12, v57, 0
	s_mul_i32 s4, s13, 0xc8
	s_mul_hi_u32 s5, s12, 0xc8
	s_mulk_i32 s12, 0xc8
	s_add_i32 s5, s5, s4
	s_delay_alu instid0(VALU_DEP_1) | instskip(NEXT) | instid1(VALU_DEP_1)
	v_mad_u64_u32 v[5:6], null, s15, v36, v[2:3]
	v_mov_b32_e32 v2, v5
	s_delay_alu instid0(VALU_DEP_3)
	v_mad_u64_u32 v[6:7], null, s13, v57, v[4:5]
	v_lshlrev_b32_e32 v32, 3, v57
	s_clause 0x3
	global_load_b64 v[47:48], v32, s[8:9]
	global_load_b64 v[43:44], v32, s[8:9] offset:200
	global_load_b64 v[39:40], v32, s[8:9] offset:400
	;; [unrolled: 1-line block ×3, first 2 shown]
	v_mov_b32_e32 v4, v6
	v_lshlrev_b64 v[1:2], 3, v[1:2]
	s_clause 0x3
	global_load_b64 v[51:52], v32, s[8:9] offset:800
	global_load_b64 v[49:50], v32, s[8:9] offset:1000
	;; [unrolled: 1-line block ×4, first 2 shown]
	v_lshlrev_b64 v[3:4], 3, v[3:4]
	v_add_co_u32 v1, vcc_lo, s18, v1
	v_add_co_ci_u32_e32 v2, vcc_lo, s19, v2, vcc_lo
	s_delay_alu instid0(VALU_DEP_2) | instskip(NEXT) | instid1(VALU_DEP_2)
	v_add_co_u32 v1, vcc_lo, v1, v3
	v_add_co_ci_u32_e32 v2, vcc_lo, v2, v4, vcc_lo
	s_delay_alu instid0(VALU_DEP_2) | instskip(NEXT) | instid1(VALU_DEP_2)
	v_add_co_u32 v3, vcc_lo, v1, s12
	v_add_co_ci_u32_e32 v4, vcc_lo, s5, v2, vcc_lo
	global_load_b64 v[1:2], v[1:2], off
	v_add_co_u32 v5, vcc_lo, v3, s12
	v_add_co_ci_u32_e32 v6, vcc_lo, s5, v4, vcc_lo
	s_delay_alu instid0(VALU_DEP_2) | instskip(NEXT) | instid1(VALU_DEP_2)
	v_add_co_u32 v7, vcc_lo, v5, s12
	v_add_co_ci_u32_e32 v8, vcc_lo, s5, v6, vcc_lo
	s_clause 0x1
	global_load_b64 v[3:4], v[3:4], off
	global_load_b64 v[5:6], v[5:6], off
	v_add_co_u32 v9, vcc_lo, v7, s12
	v_add_co_ci_u32_e32 v10, vcc_lo, s5, v8, vcc_lo
	s_delay_alu instid0(VALU_DEP_2) | instskip(NEXT) | instid1(VALU_DEP_2)
	v_add_co_u32 v11, vcc_lo, v9, s12
	v_add_co_ci_u32_e32 v12, vcc_lo, s5, v10, vcc_lo
	s_clause 0x1
	global_load_b64 v[7:8], v[7:8], off
	global_load_b64 v[9:10], v[9:10], off
	v_add_co_u32 v13, vcc_lo, v11, s12
	v_add_co_ci_u32_e32 v14, vcc_lo, s5, v12, vcc_lo
	global_load_b64 v[11:12], v[11:12], off
	v_add_co_u32 v15, vcc_lo, v13, s12
	v_add_co_ci_u32_e32 v16, vcc_lo, s5, v14, vcc_lo
	;; [unrolled: 3-line block ×4, first 2 shown]
	global_load_b64 v[21:22], v[17:18], off
	s_clause 0x1
	global_load_b64 v[53:54], v32, s[8:9] offset:1600
	global_load_b64 v[55:56], v32, s[8:9] offset:1800
	global_load_b64 v[23:24], v[15:16], off
	v_mul_hi_u32 v15, 0xcccccccd, v36
	v_and_b32_e32 v16, 0xff, v0
	s_load_b128 s[4:7], s[6:7], 0x0
	s_delay_alu instid0(VALU_DEP_1) | instskip(SKIP_1) | instid1(VALU_DEP_4)
	v_mul_lo_u16 v17, 0xcd, v16
	v_add_co_u32 v16, null, v57, 25
	v_lshrrev_b32_e32 v15, 2, v15
	s_delay_alu instid0(VALU_DEP_3) | instskip(NEXT) | instid1(VALU_DEP_3)
	v_lshrrev_b16 v29, 11, v17
	v_and_b32_e32 v17, 0xff, v16
	s_delay_alu instid0(VALU_DEP_3) | instskip(NEXT) | instid1(VALU_DEP_3)
	v_lshl_add_u32 v15, v15, 2, v15
	v_mul_lo_u16 v18, v29, 10
	s_delay_alu instid0(VALU_DEP_3) | instskip(NEXT) | instid1(VALU_DEP_3)
	v_mul_lo_u16 v25, 0xcd, v17
	v_sub_nc_u32_e32 v15, v36, v15
	s_delay_alu instid0(VALU_DEP_3) | instskip(NEXT) | instid1(VALU_DEP_3)
	v_sub_nc_u16 v30, v0, v18
	v_lshrrev_b16 v31, 11, v25
	v_mul_lo_u16 v0, v0, 10
	s_delay_alu instid0(VALU_DEP_4) | instskip(NEXT) | instid1(VALU_DEP_2)
	v_mul_u32_u24_e32 v15, 0xfa, v15
	v_and_b32_e32 v0, 0xffff, v0
	s_delay_alu instid0(VALU_DEP_2) | instskip(SKIP_3) | instid1(VALU_DEP_2)
	v_lshlrev_b32_e32 v17, 3, v15
	s_waitcnt vmcnt(11)
	v_mul_f32_e32 v25, v2, v48
	v_mul_f32_e32 v15, v1, v48
	v_fmac_f32_e32 v25, v1, v47
	s_delay_alu instid0(VALU_DEP_2)
	v_fma_f32 v26, v2, v47, -v15
	s_waitcnt vmcnt(10)
	v_mul_f32_e32 v18, v3, v44
	v_add_nc_u32_e32 v58, v32, v17
	v_mul_f32_e32 v27, v4, v44
	s_waitcnt vmcnt(9)
	v_mul_f32_e32 v1, v6, v40
	v_mul_f32_e32 v2, v5, v40
	v_fma_f32 v28, v4, v43, -v18
	v_lshl_add_u32 v59, v0, 3, v17
	s_delay_alu instid0(VALU_DEP_3)
	v_fma_f32 v2, v6, v39, -v2
	s_waitcnt vmcnt(8)
	v_mul_f32_e32 v4, v7, v38
	v_fmac_f32_e32 v27, v3, v43
	s_waitcnt vmcnt(7)
	v_dual_mul_f32 v3, v8, v38 :: v_dual_mul_f32 v6, v9, v52
	s_delay_alu instid0(VALU_DEP_3)
	v_fma_f32 v4, v8, v37, -v4
	s_waitcnt vmcnt(6)
	v_dual_mul_f32 v8, v11, v50 :: v_dual_fmac_f32 v1, v5, v39
	v_mul_f32_e32 v5, v10, v52
	v_fmac_f32_e32 v3, v7, v37
	v_fma_f32 v6, v10, v51, -v6
	s_waitcnt vmcnt(5)
	v_mul_f32_e32 v10, v13, v46
	v_fma_f32 v8, v12, v49, -v8
	v_fmac_f32_e32 v5, v9, v51
	v_mul_f32_e32 v9, v14, v46
	s_delay_alu instid0(VALU_DEP_4) | instskip(NEXT) | instid1(VALU_DEP_2)
	v_fma_f32 v10, v14, v45, -v10
	v_fmac_f32_e32 v9, v13, v45
	s_waitcnt vmcnt(0)
	v_dual_mul_f32 v13, v22, v54 :: v_dual_mul_f32 v18, v24, v56
	v_mul_f32_e32 v7, v12, v50
	v_mul_f32_e32 v12, v19, v42
	v_dual_mul_f32 v14, v21, v54 :: v_dual_mul_f32 v15, v23, v56
	s_delay_alu instid0(VALU_DEP_4) | instskip(NEXT) | instid1(VALU_DEP_4)
	v_fmac_f32_e32 v18, v23, v55
	v_fmac_f32_e32 v7, v11, v49
	v_mul_f32_e32 v11, v20, v42
	v_fma_f32 v12, v20, v41, -v12
	v_fmac_f32_e32 v13, v21, v53
	v_fma_f32 v14, v22, v53, -v14
	s_delay_alu instid0(VALU_DEP_4)
	v_fmac_f32_e32 v11, v19, v41
	v_fma_f32 v19, v24, v55, -v15
	ds_store_2addr_b64 v58, v[25:26], v[27:28] offset1:25
	ds_store_2addr_b64 v58, v[1:2], v[3:4] offset0:50 offset1:75
	ds_store_2addr_b64 v58, v[5:6], v[7:8] offset0:100 offset1:125
	;; [unrolled: 1-line block ×4, first 2 shown]
	s_waitcnt lgkmcnt(0)
	s_barrier
	buffer_gl0_inv
	ds_load_2addr_b64 v[1:4], v58 offset1:25
	ds_load_2addr_b64 v[5:8], v58 offset0:50 offset1:75
	ds_load_2addr_b64 v[9:12], v58 offset0:100 offset1:125
	;; [unrolled: 1-line block ×4, first 2 shown]
	v_lshlrev_b16 v13, 2, v30
	v_mul_lo_u16 v14, v31, 10
	v_and_b32_e32 v31, 0xffff, v31
	s_waitcnt lgkmcnt(0)
	s_barrier
	v_and_b32_e32 v13, 0xfc, v13
	v_sub_nc_u16 v14, v16, v14
	v_mul_u32_u24_e32 v31, 50, v31
	buffer_gl0_inv
	v_mad_u16 v30, v29, 50, v30
	v_dual_add_f32 v0, v1, v5 :: v_dual_and_b32 v33, 0xff, v14
	v_sub_f32_e32 v64, v6, v10
	v_lshlrev_b32_e32 v26, 3, v13
	v_dual_add_f32 v66, v6, v23 :: v_dual_add_f32 v13, v9, v18
	v_add_f32_e32 v68, v3, v7
	v_dual_sub_f32 v14, v6, v23 :: v_dual_sub_f32 v27, v5, v9
	v_sub_f32_e32 v28, v22, v18
	v_add_f32_e32 v34, v5, v22
	v_dual_sub_f32 v35, v9, v5 :: v_dual_sub_f32 v72, v7, v11
	v_sub_f32_e32 v60, v18, v22
	v_dual_add_f32 v61, v2, v6 :: v_dual_add_f32 v74, v7, v24
	v_dual_add_f32 v62, v10, v19 :: v_dual_sub_f32 v5, v5, v22
	v_dual_sub_f32 v76, v20, v24 :: v_dual_sub_f32 v63, v9, v18
	v_dual_add_f32 v78, v12, v21 :: v_dual_sub_f32 v65, v23, v19
	v_add_f32_e32 v80, v8, v25
	v_dual_sub_f32 v6, v10, v6 :: v_dual_sub_f32 v67, v19, v23
	v_dual_sub_f32 v75, v11, v7 :: v_dual_add_f32 v0, v0, v9
	v_fma_f32 v13, -0.5, v13, v1
	v_dual_sub_f32 v15, v10, v19 :: v_dual_sub_f32 v70, v8, v25
	v_dual_add_f32 v69, v11, v20 :: v_dual_sub_f32 v82, v25, v21
	v_dual_sub_f32 v71, v12, v21 :: v_dual_add_f32 v10, v61, v10
	v_sub_f32_e32 v79, v8, v12
	v_sub_f32_e32 v81, v11, v20
	;; [unrolled: 1-line block ×3, first 2 shown]
	v_dual_add_f32 v61, v75, v76 :: v_dual_add_f32 v0, v0, v18
	v_dual_fmamk_f32 v18, v14, 0x3f737871, v13 :: v_dual_add_f32 v77, v4, v8
	v_sub_f32_e32 v8, v12, v8
	v_sub_f32_e32 v73, v24, v20
	v_add_f32_e32 v9, v27, v28
	v_fma_f32 v27, -0.5, v34, v1
	v_fma_f32 v28, -0.5, v62, v2
	v_fma_f32 v62, -0.5, v78, v4
	v_fmac_f32_e32 v4, -0.5, v80
	v_dual_add_f32 v1, v35, v60 :: v_dual_add_f32 v8, v8, v83
	v_fma_f32 v35, -0.5, v66, v2
	v_add_f32_e32 v2, v6, v67
	v_dual_add_f32 v6, v68, v11 :: v_dual_sub_f32 v7, v7, v24
	v_add_f32_e32 v34, v64, v65
	v_fma_f32 v11, -0.5, v69, v3
	v_fma_f32 v3, -0.5, v74, v3
	v_add_f32_e32 v64, v79, v82
	v_dual_add_f32 v12, v77, v12 :: v_dual_fmac_f32 v13, 0xbf737871, v14
	v_dual_fmamk_f32 v65, v15, 0xbf737871, v27 :: v_dual_add_f32 v10, v10, v19
	v_fmac_f32_e32 v27, 0x3f737871, v15
	v_dual_fmamk_f32 v19, v5, 0xbf737871, v28 :: v_dual_add_f32 v6, v6, v20
	v_fmac_f32_e32 v28, 0x3f737871, v5
	v_fmamk_f32 v66, v63, 0x3f737871, v35
	v_dual_fmac_f32 v35, 0xbf737871, v63 :: v_dual_add_f32 v12, v12, v21
	v_dual_fmamk_f32 v67, v71, 0xbf737871, v3 :: v_dual_add_f32 v22, v0, v22
	v_dual_fmac_f32 v18, 0x3f167918, v15 :: v_dual_fmac_f32 v65, 0x3f167918, v14
	s_delay_alu instid0(VALU_DEP_4) | instskip(NEXT) | instid1(VALU_DEP_4)
	v_dual_fmac_f32 v13, 0xbf167918, v15 :: v_dual_fmac_f32 v66, 0xbf167918, v5
	v_dual_fmac_f32 v28, 0x3f167918, v63 :: v_dual_fmac_f32 v35, 0x3f167918, v5
	v_add_f32_e32 v5, v6, v24
	v_dual_fmac_f32 v19, 0xbf167918, v63 :: v_dual_add_f32 v60, v72, v73
	v_dual_fmac_f32 v3, 0x3f737871, v71 :: v_dual_fmamk_f32 v68, v81, 0x3f737871, v4
	s_delay_alu instid0(VALU_DEP_3) | instskip(NEXT) | instid1(VALU_DEP_3)
	v_add_f32_e32 v0, v22, v5
	v_dual_fmac_f32 v18, 0x3e9e377a, v9 :: v_dual_fmac_f32 v19, 0x3e9e377a, v34
	v_fmamk_f32 v20, v70, 0x3f737871, v11
	v_fmac_f32_e32 v67, 0x3f167918, v70
	v_dual_fmac_f32 v3, 0xbf167918, v70 :: v_dual_fmac_f32 v68, 0xbf167918, v7
	v_dual_fmac_f32 v11, 0xbf737871, v70 :: v_dual_fmac_f32 v4, 0xbf737871, v81
	s_delay_alu instid0(VALU_DEP_4) | instskip(NEXT) | instid1(VALU_DEP_3)
	v_fmac_f32_e32 v20, 0x3f167918, v71
	v_dual_fmac_f32 v67, 0x3e9e377a, v61 :: v_dual_fmac_f32 v68, 0x3e9e377a, v8
	v_dual_fmac_f32 v13, 0x3e9e377a, v9 :: v_dual_fmac_f32 v28, 0x3e9e377a, v34
	;; [unrolled: 1-line block ×3, first 2 shown]
	s_delay_alu instid0(VALU_DEP_3) | instskip(SKIP_2) | instid1(VALU_DEP_3)
	v_dual_mul_f32 v24, 0xbf737871, v67 :: v_dual_fmamk_f32 v21, v7, 0xbf737871, v62
	v_dual_add_f32 v10, v10, v23 :: v_dual_fmac_f32 v27, 0xbf167918, v14
	v_add_f32_e32 v12, v12, v25
	v_fmac_f32_e32 v24, 0x3e9e377a, v68
	v_fmac_f32_e32 v4, 0x3f167918, v7
	;; [unrolled: 1-line block ×3, first 2 shown]
	v_dual_fmac_f32 v27, 0x3e9e377a, v1 :: v_dual_fmac_f32 v20, 0x3e9e377a, v60
	s_delay_alu instid0(VALU_DEP_4) | instskip(NEXT) | instid1(VALU_DEP_4)
	v_add_f32_e32 v9, v66, v24
	v_dual_fmac_f32 v3, 0x3e9e377a, v61 :: v_dual_fmac_f32 v4, 0x3e9e377a, v8
	s_delay_alu instid0(VALU_DEP_4) | instskip(SKIP_2) | instid1(VALU_DEP_4)
	v_dual_add_f32 v1, v10, v12 :: v_dual_fmac_f32 v62, 0x3f167918, v81
	v_sub_f32_e32 v7, v10, v12
	v_dual_fmac_f32 v11, 0xbf167918, v71 :: v_dual_sub_f32 v6, v22, v5
	v_mul_f32_e32 v25, 0xbe9e377a, v4
	s_delay_alu instid0(VALU_DEP_4) | instskip(SKIP_2) | instid1(VALU_DEP_4)
	v_dual_fmac_f32 v35, 0x3e9e377a, v2 :: v_dual_fmac_f32 v62, 0x3e9e377a, v64
	v_mul_f32_e32 v23, 0xbf167918, v20
	v_add_nc_u32_e32 v31, v31, v33
	v_fmac_f32_e32 v25, 0xbf737871, v3
	v_mul_f32_e32 v14, 0x3f737871, v68
	v_fmac_f32_e32 v11, 0x3e9e377a, v60
	v_mul_f32_e32 v34, 0xbf4f1bbd, v62
	v_lshl_add_u32 v60, v31, 3, v17
	s_delay_alu instid0(VALU_DEP_4) | instskip(NEXT) | instid1(VALU_DEP_3)
	v_fmac_f32_e32 v14, 0x3e9e377a, v67
	v_dual_fmac_f32 v21, 0xbf167918, v81 :: v_dual_fmac_f32 v34, 0xbf167918, v11
	v_mul_f32_e32 v22, 0xbf4f1bbd, v11
	s_delay_alu instid0(VALU_DEP_2) | instskip(NEXT) | instid1(VALU_DEP_3)
	v_dual_add_f32 v8, v65, v14 :: v_dual_fmac_f32 v21, 0x3e9e377a, v64
	v_dual_mul_f32 v12, 0x3f4f1bbd, v20 :: v_dual_add_f32 v5, v28, v34
	s_delay_alu instid0(VALU_DEP_3) | instskip(NEXT) | instid1(VALU_DEP_3)
	v_fmac_f32_e32 v22, 0x3f167918, v62
	v_dual_sub_f32 v14, v65, v14 :: v_dual_fmac_f32 v23, 0x3f4f1bbd, v21
	s_delay_alu instid0(VALU_DEP_3) | instskip(NEXT) | instid1(VALU_DEP_3)
	v_fmac_f32_e32 v12, 0x3f167918, v21
	v_dual_mul_f32 v15, 0xbe9e377a, v3 :: v_dual_sub_f32 v20, v13, v22
	v_sub_f32_e32 v21, v28, v34
	s_delay_alu instid0(VALU_DEP_3) | instskip(NEXT) | instid1(VALU_DEP_3)
	v_dual_add_f32 v3, v19, v23 :: v_dual_add_f32 v2, v18, v12
	v_fmac_f32_e32 v15, 0x3f737871, v4
	v_dual_sub_f32 v12, v18, v12 :: v_dual_add_f32 v11, v35, v25
	v_dual_add_f32 v4, v13, v22 :: v_dual_sub_f32 v13, v19, v23
	s_delay_alu instid0(VALU_DEP_3)
	v_add_f32_e32 v10, v27, v15
	v_dual_sub_f32 v18, v27, v15 :: v_dual_sub_f32 v15, v66, v24
	v_sub_f32_e32 v19, v35, v25
	v_lshlrev_b32_e32 v35, 5, v57
	ds_store_b128 v59, v[0:3]
	ds_store_b128 v59, v[8:11] offset:16
	ds_store_b128 v59, v[4:7] offset:32
	;; [unrolled: 1-line block ×4, first 2 shown]
	s_waitcnt lgkmcnt(0)
	s_barrier
	buffer_gl0_inv
	global_load_b128 v[12:15], v26, s[10:11]
	v_lshlrev_b32_e32 v0, 5, v33
	s_clause 0x2
	global_load_b128 v[8:11], v26, s[10:11] offset:16
	global_load_b128 v[4:7], v0, s[10:11]
	global_load_b128 v[0:3], v0, s[10:11] offset:16
	ds_load_2addr_b64 v[18:21], v58 offset0:50 offset1:75
	ds_load_2addr_b64 v[22:25], v58 offset0:100 offset1:125
	;; [unrolled: 1-line block ×4, first 2 shown]
	ds_load_2addr_b64 v[66:69], v58 offset1:25
	v_and_b32_e32 v30, 0xff, v30
	v_lshlrev_b32_e32 v70, 5, v16
	s_waitcnt vmcnt(0) lgkmcnt(0)
	s_barrier
	buffer_gl0_inv
	v_dual_mul_f32 v16, v19, v13 :: v_dual_mul_f32 v31, v22, v15
	v_mul_f32_e32 v71, v63, v11
	v_mul_f32_e32 v33, v27, v9
	v_lshl_add_u32 v61, v30, 3, v17
	v_dual_mul_f32 v30, v23, v15 :: v_dual_mul_f32 v73, v21, v5
	v_mul_f32_e32 v17, v18, v13
	v_dual_mul_f32 v34, v26, v9 :: v_dual_mul_f32 v75, v25, v7
	v_dual_mul_f32 v72, v62, v11 :: v_dual_mul_f32 v77, v29, v1
	;; [unrolled: 1-line block ×3, first 2 shown]
	s_delay_alu instid0(VALU_DEP_4)
	v_dual_mul_f32 v76, v24, v7 :: v_dual_fmac_f32 v17, v19, v12
	v_dual_mul_f32 v78, v28, v1 :: v_dual_fmac_f32 v31, v23, v14
	v_fma_f32 v16, v18, v12, -v16
	v_fma_f32 v18, v22, v14, -v30
	;; [unrolled: 1-line block ×3, first 2 shown]
	v_mul_f32_e32 v80, v64, v3
	v_fmac_f32_e32 v34, v27, v8
	v_fma_f32 v19, v20, v4, -v73
	v_fma_f32 v30, v62, v10, -v71
	v_fmac_f32_e32 v72, v63, v10
	v_fma_f32 v23, v24, v6, -v75
	v_sub_f32_e32 v75, v17, v31
	v_dual_fmac_f32 v76, v25, v6 :: v_dual_sub_f32 v81, v31, v17
	v_fma_f32 v24, v28, v0, -v77
	v_dual_fmac_f32 v78, v29, v0 :: v_dual_add_f32 v27, v16, v30
	v_fma_f32 v33, v64, v2, -v79
	v_dual_sub_f32 v25, v16, v18 :: v_dual_fmac_f32 v74, v21, v4
	v_sub_f32_e32 v63, v31, v34
	v_add_f32_e32 v21, v18, v22
	v_dual_fmac_f32 v80, v65, v2 :: v_dual_add_f32 v83, v68, v19
	v_dual_add_f32 v20, v66, v16 :: v_dual_add_f32 v65, v31, v34
	v_dual_sub_f32 v26, v30, v22 :: v_dual_add_f32 v79, v17, v72
	v_dual_add_f32 v64, v67, v17 :: v_dual_sub_f32 v73, v18, v22
	v_dual_add_f32 v84, v23, v24 :: v_dual_sub_f32 v89, v24, v33
	v_dual_add_f32 v87, v19, v33 :: v_dual_add_f32 v90, v76, v78
	v_dual_sub_f32 v92, v80, v78 :: v_dual_add_f32 v93, v74, v80
	v_dual_add_f32 v94, v69, v74 :: v_dual_sub_f32 v95, v74, v80
	v_dual_sub_f32 v62, v17, v72 :: v_dual_sub_f32 v29, v22, v30
	v_dual_sub_f32 v28, v18, v16 :: v_dual_sub_f32 v71, v16, v30
	;; [unrolled: 1-line block ×7, first 2 shown]
	v_add_f32_e32 v100, v20, v18
	v_fma_f32 v16, -0.5, v21, v66
	v_fma_f32 v17, -0.5, v65, v67
	s_delay_alu instid0(VALU_DEP_4)
	v_dual_add_f32 v23, v83, v23 :: v_dual_add_f32 v74, v74, v96
	v_dual_sub_f32 v98, v19, v33 :: v_dual_add_f32 v101, v25, v26
	v_dual_add_f32 v25, v64, v31 :: v_dual_add_f32 v64, v75, v77
	v_fma_f32 v18, -0.5, v27, v66
	v_fma_f32 v19, -0.5, v79, v67
	;; [unrolled: 1-line block ×4, first 2 shown]
	v_dual_fmac_f32 v69, -0.5, v93 :: v_dual_add_f32 v26, v94, v76
	v_fma_f32 v68, -0.5, v87, v68
	v_add_f32_e32 v75, v91, v92
	v_dual_add_f32 v31, v100, v22 :: v_dual_fmamk_f32 v22, v62, 0x3f737871, v16
	v_fmac_f32_e32 v16, 0xbf737871, v62
	v_add_f32_e32 v76, v23, v24
	v_dual_fmamk_f32 v23, v71, 0xbf737871, v17 :: v_dual_add_f32 v34, v25, v34
	v_fmac_f32_e32 v17, 0x3f737871, v71
	v_fmamk_f32 v24, v63, 0xbf737871, v18
	v_dual_fmac_f32 v18, 0x3f737871, v63 :: v_dual_add_f32 v77, v26, v78
	v_fmamk_f32 v25, v73, 0x3f737871, v19
	v_fmac_f32_e32 v19, 0xbf737871, v73
	v_fmamk_f32 v26, v95, 0x3f737871, v20
	v_dual_fmac_f32 v20, 0xbf737871, v95 :: v_dual_fmamk_f32 v27, v98, 0xbf737871, v21
	v_dual_add_f32 v102, v28, v29 :: v_dual_add_f32 v65, v81, v82
	v_fmamk_f32 v28, v97, 0xbf737871, v68
	v_dual_fmac_f32 v68, 0x3f737871, v97 :: v_dual_fmamk_f32 v29, v99, 0x3f737871, v69
	v_fmac_f32_e32 v21, 0x3f737871, v98
	v_fmac_f32_e32 v69, 0xbf737871, v99
	;; [unrolled: 1-line block ×3, first 2 shown]
	v_dual_fmac_f32 v16, 0xbf167918, v63 :: v_dual_fmac_f32 v23, 0xbf167918, v73
	v_dual_fmac_f32 v24, 0x3f167918, v62 :: v_dual_fmac_f32 v19, 0x3f167918, v71
	;; [unrolled: 1-line block ×3, first 2 shown]
	v_dual_add_f32 v30, v31, v30 :: v_dual_fmac_f32 v17, 0x3f167918, v73
	v_dual_add_f32 v66, v85, v86 :: v_dual_add_f32 v67, v88, v89
	v_dual_fmac_f32 v26, 0x3f167918, v97 :: v_dual_fmac_f32 v21, 0x3f167918, v99
	v_dual_fmac_f32 v20, 0xbf167918, v97 :: v_dual_fmac_f32 v27, 0xbf167918, v99
	v_add_f32_e32 v31, v34, v72
	v_dual_add_f32 v33, v76, v33 :: v_dual_fmac_f32 v28, 0x3f167918, v95
	v_dual_fmac_f32 v68, 0xbf167918, v95 :: v_dual_fmac_f32 v29, 0xbf167918, v98
	v_dual_add_f32 v34, v77, v80 :: v_dual_fmac_f32 v69, 0x3f167918, v98
	v_dual_fmac_f32 v22, 0x3e9e377a, v101 :: v_dual_fmac_f32 v23, 0x3e9e377a, v64
	v_dual_fmac_f32 v24, 0x3e9e377a, v102 :: v_dual_fmac_f32 v25, 0x3e9e377a, v65
	;; [unrolled: 1-line block ×8, first 2 shown]
	ds_store_2addr_b64 v61, v[30:31], v[22:23] offset1:10
	ds_store_2addr_b64 v61, v[24:25], v[18:19] offset0:20 offset1:30
	ds_store_b64 v61, v[16:17] offset:320
	ds_store_2addr_b64 v60, v[33:34], v[26:27] offset1:10
	ds_store_2addr_b64 v60, v[28:29], v[68:69] offset0:20 offset1:30
	ds_store_b64 v60, v[20:21] offset:320
	s_waitcnt lgkmcnt(0)
	s_barrier
	buffer_gl0_inv
	s_clause 0x3
	global_load_b128 v[28:31], v35, s[10:11] offset:320
	global_load_b128 v[20:23], v70, s[10:11] offset:320
	;; [unrolled: 1-line block ×4, first 2 shown]
	ds_load_2addr_b64 v[62:65], v58 offset0:50 offset1:75
	ds_load_2addr_b64 v[66:69], v58 offset0:100 offset1:125
	;; [unrolled: 1-line block ×4, first 2 shown]
	ds_load_2addr_b64 v[78:81], v58 offset1:25
	s_waitcnt vmcnt(3) lgkmcnt(3)
	v_dual_mul_f32 v33, v63, v29 :: v_dual_mul_f32 v84, v66, v31
	v_dual_mul_f32 v34, v62, v29 :: v_dual_mul_f32 v83, v67, v31
	s_waitcnt vmcnt(1) lgkmcnt(1)
	v_dual_mul_f32 v87, v71, v25 :: v_dual_mul_f32 v92, v74, v27
	v_dual_mul_f32 v88, v70, v25 :: v_dual_mul_f32 v91, v75, v27
	v_fma_f32 v33, v62, v28, -v33
	v_fma_f32 v62, v66, v30, -v83
	s_delay_alu instid0(VALU_DEP_4)
	v_fma_f32 v66, v70, v24, -v87
	v_dual_mul_f32 v35, v65, v21 :: v_dual_mul_f32 v86, v68, v23
	v_dual_mul_f32 v82, v64, v21 :: v_dual_mul_f32 v85, v69, v23
	s_waitcnt vmcnt(0)
	v_dual_mul_f32 v89, v73, v17 :: v_dual_mul_f32 v94, v76, v19
	v_dual_mul_f32 v90, v72, v17 :: v_dual_mul_f32 v93, v77, v19
	v_fmac_f32_e32 v34, v63, v28
	v_dual_fmac_f32 v88, v71, v24 :: v_dual_sub_f32 v83, v62, v66
	v_fmac_f32_e32 v92, v75, v26
	v_fma_f32 v35, v64, v20, -v35
	v_fmac_f32_e32 v86, v69, v22
	v_fma_f32 v74, v74, v26, -v91
	v_sub_f32_e32 v69, v33, v62
	s_waitcnt lgkmcnt(0)
	v_dual_fmac_f32 v82, v65, v20 :: v_dual_add_f32 v65, v79, v34
	v_dual_fmac_f32 v84, v67, v30 :: v_dual_sub_f32 v91, v34, v92
	v_fma_f32 v63, v68, v22, -v85
	v_fma_f32 v67, v72, v16, -v89
	v_dual_fmac_f32 v90, v73, v16 :: v_dual_sub_f32 v71, v74, v66
	v_fma_f32 v76, v76, v18, -v93
	v_dual_fmac_f32 v94, v77, v18 :: v_dual_sub_f32 v77, v34, v84
	v_dual_add_f32 v64, v78, v33 :: v_dual_add_f32 v73, v33, v74
	v_dual_sub_f32 v70, v62, v33 :: v_dual_sub_f32 v85, v33, v74
	v_dual_sub_f32 v72, v66, v74 :: v_dual_add_f32 v33, v80, v35
	v_dual_add_f32 v75, v84, v88 :: v_dual_add_f32 v68, v62, v66
	v_sub_f32_e32 v95, v92, v88
	v_dual_sub_f32 v89, v84, v34 :: v_dual_add_f32 v104, v63, v67
	v_dual_add_f32 v93, v34, v92 :: v_dual_add_f32 v34, v81, v82
	v_sub_f32_e32 v87, v84, v88
	v_dual_sub_f32 v96, v88, v92 :: v_dual_add_f32 v97, v86, v90
	v_dual_add_f32 v103, v82, v94 :: v_dual_add_f32 v110, v35, v76
	v_dual_sub_f32 v98, v82, v86 :: v_dual_sub_f32 v105, v35, v63
	v_dual_sub_f32 v99, v86, v82 :: v_dual_sub_f32 v106, v63, v35
	;; [unrolled: 1-line block ×4, first 2 shown]
	v_dual_add_f32 v111, v64, v62 :: v_dual_add_f32 v84, v65, v84
	v_add_f32_e32 v112, v33, v63
	v_dual_add_f32 v86, v34, v86 :: v_dual_add_f32 v113, v69, v71
	v_fma_f32 v33, -0.5, v68, v78
	v_fma_f32 v34, -0.5, v75, v79
	;; [unrolled: 1-line block ×4, first 2 shown]
	v_dual_sub_f32 v82, v82, v94 :: v_dual_sub_f32 v35, v35, v76
	v_fma_f32 v64, -0.5, v104, v80
	v_fma_f32 v80, -0.5, v110, v80
	;; [unrolled: 1-line block ×3, first 2 shown]
	v_dual_fmac_f32 v81, -0.5, v103 :: v_dual_add_f32 v86, v86, v90
	v_dual_sub_f32 v101, v94, v90 :: v_dual_sub_f32 v108, v76, v67
	v_dual_add_f32 v114, v70, v72 :: v_dual_add_f32 v95, v77, v95
	s_delay_alu instid0(VALU_DEP_2) | instskip(SKIP_4) | instid1(VALU_DEP_3)
	v_dual_add_f32 v78, v89, v96 :: v_dual_add_f32 v93, v98, v101
	v_add_f32_e32 v89, v106, v109
	v_add_f32_e32 v75, v111, v66
	v_dual_add_f32 v77, v84, v88 :: v_dual_fmamk_f32 v66, v91, 0x3f737871, v33
	v_dual_add_f32 v84, v112, v67 :: v_dual_fmamk_f32 v67, v85, 0xbf737871, v34
	v_dual_add_f32 v74, v75, v74 :: v_dual_fmac_f32 v33, 0xbf737871, v91
	v_fmamk_f32 v68, v87, 0xbf737871, v62
	v_dual_fmac_f32 v62, 0x3f737871, v87 :: v_dual_fmamk_f32 v69, v83, 0x3f737871, v63
	v_fmac_f32_e32 v34, 0x3f737871, v85
	v_fmac_f32_e32 v63, 0xbf737871, v83
	v_dual_fmamk_f32 v70, v82, 0x3f737871, v64 :: v_dual_fmamk_f32 v73, v107, 0x3f737871, v81
	v_dual_fmamk_f32 v72, v100, 0xbf737871, v80 :: v_dual_fmamk_f32 v71, v35, 0xbf737871, v65
	v_fmac_f32_e32 v80, 0x3f737871, v100
	v_dual_fmac_f32 v81, 0xbf737871, v107 :: v_dual_add_f32 v76, v84, v76
	v_fmac_f32_e32 v64, 0xbf737871, v82
	v_fmac_f32_e32 v65, 0x3f737871, v35
	v_dual_add_f32 v75, v77, v92 :: v_dual_fmac_f32 v66, 0x3f167918, v87
	v_add_f32_e32 v77, v86, v94
	v_dual_fmac_f32 v67, 0xbf167918, v83 :: v_dual_fmac_f32 v80, 0xbf167918, v82
	v_dual_fmac_f32 v33, 0xbf167918, v87 :: v_dual_fmac_f32 v64, 0xbf167918, v100
	;; [unrolled: 1-line block ×4, first 2 shown]
	v_dual_fmac_f32 v34, 0x3f167918, v83 :: v_dual_add_f32 v79, v105, v108
	v_add_f32_e32 v96, v99, v102
	v_dual_fmac_f32 v72, 0x3f167918, v82 :: v_dual_fmac_f32 v81, 0x3f167918, v35
	v_dual_fmac_f32 v70, 0x3f167918, v100 :: v_dual_fmac_f32 v65, 0x3f167918, v107
	v_fmac_f32_e32 v71, 0xbf167918, v107
	v_fmac_f32_e32 v73, 0xbf167918, v35
	v_dual_fmac_f32 v66, 0x3e9e377a, v113 :: v_dual_fmac_f32 v67, 0x3e9e377a, v95
	v_dual_fmac_f32 v33, 0x3e9e377a, v113 :: v_dual_fmac_f32 v68, 0x3e9e377a, v114
	v_dual_fmac_f32 v34, 0x3e9e377a, v95 :: v_dual_fmac_f32 v69, 0x3e9e377a, v78
	v_dual_fmac_f32 v62, 0x3e9e377a, v114 :: v_dual_fmac_f32 v71, 0x3e9e377a, v93
	v_dual_fmac_f32 v63, 0x3e9e377a, v78 :: v_dual_fmac_f32 v70, 0x3e9e377a, v79
	v_dual_fmac_f32 v80, 0x3e9e377a, v89 :: v_dual_fmac_f32 v81, 0x3e9e377a, v96
	v_dual_fmac_f32 v64, 0x3e9e377a, v79 :: v_dual_fmac_f32 v65, 0x3e9e377a, v93
	v_dual_fmac_f32 v72, 0x3e9e377a, v89 :: v_dual_fmac_f32 v73, 0x3e9e377a, v96
	ds_store_b64 v58, v[66:67] offset:400
	ds_store_b64 v58, v[68:69] offset:800
	;; [unrolled: 1-line block ×4, first 2 shown]
	ds_store_2addr_b64 v58, v[74:75], v[76:77] offset1:25
	ds_store_b64 v58, v[70:71] offset:600
	ds_store_b64 v58, v[72:73] offset:1000
	;; [unrolled: 1-line block ×4, first 2 shown]
	s_waitcnt lgkmcnt(0)
	s_barrier
	buffer_gl0_inv
	s_clause 0x9
	global_load_b64 v[78:79], v32, s[8:9] offset:2000
	global_load_b64 v[80:81], v32, s[2:3] offset:200
	;; [unrolled: 1-line block ×10, first 2 shown]
	ds_load_2addr_b64 v[32:35], v58 offset1:25
	ds_load_2addr_b64 v[62:65], v58 offset0:50 offset1:75
	ds_load_2addr_b64 v[66:69], v58 offset0:100 offset1:125
	;; [unrolled: 1-line block ×4, first 2 shown]
	s_mov_b32 s2, 0xd2f1a9fc
	s_mov_b32 s3, 0x3f70624d
	s_waitcnt vmcnt(9) lgkmcnt(4)
	v_mul_f32_e32 v98, v33, v79
	s_waitcnt vmcnt(8)
	v_dual_mul_f32 v99, v32, v79 :: v_dual_mul_f32 v100, v35, v81
	v_mul_f32_e32 v79, v34, v81
	s_waitcnt vmcnt(7) lgkmcnt(3)
	v_mul_f32_e32 v101, v63, v83
	s_waitcnt vmcnt(6)
	v_dual_mul_f32 v81, v62, v83 :: v_dual_mul_f32 v102, v65, v85
	v_mul_f32_e32 v83, v64, v85
	;; [unrolled: 5-line block ×3, first 2 shown]
	v_fma_f32 v98, v32, v78, -v98
	s_waitcnt vmcnt(3) lgkmcnt(1)
	v_dual_mul_f32 v32, v71, v91 :: v_dual_fmac_f32 v99, v33, v78
	v_fma_f32 v78, v34, v80, -v100
	v_mul_f32_e32 v33, v70, v91
	s_waitcnt vmcnt(2)
	v_dual_fmac_f32 v79, v35, v80 :: v_dual_mul_f32 v34, v73, v93
	v_mul_f32_e32 v35, v72, v93
	s_waitcnt vmcnt(1) lgkmcnt(0)
	v_mul_f32_e32 v91, v75, v95
	v_mul_f32_e32 v89, v74, v95
	v_fma_f32 v80, v62, v82, -v101
	s_waitcnt vmcnt(0)
	v_dual_mul_f32 v62, v77, v97 :: v_dual_fmac_f32 v81, v63, v82
	v_mul_f32_e32 v63, v76, v97
	v_fma_f32 v82, v64, v84, -v102
	v_fmac_f32_e32 v83, v65, v84
	v_fma_f32 v84, v66, v86, -v103
	v_fmac_f32_e32 v85, v67, v86
	;; [unrolled: 2-line block ×7, first 2 shown]
	ds_store_2addr_b64 v58, v[98:99], v[78:79] offset1:25
	ds_store_2addr_b64 v58, v[80:81], v[82:83] offset0:50 offset1:75
	ds_store_2addr_b64 v58, v[84:85], v[86:87] offset0:100 offset1:125
	;; [unrolled: 1-line block ×4, first 2 shown]
	s_waitcnt lgkmcnt(0)
	s_barrier
	buffer_gl0_inv
	ds_load_2addr_b64 v[32:35], v58 offset1:25
	ds_load_2addr_b64 v[62:65], v58 offset0:50 offset1:75
	ds_load_2addr_b64 v[66:69], v58 offset0:100 offset1:125
	;; [unrolled: 1-line block ×4, first 2 shown]
	s_waitcnt lgkmcnt(0)
	s_barrier
	buffer_gl0_inv
	v_add_f32_e32 v78, v32, v62
	v_dual_sub_f32 v82, v66, v62 :: v_dual_sub_f32 v93, v68, v64
	v_sub_f32_e32 v107, v72, v76
	v_sub_f32_e32 v87, v66, v70
	;; [unrolled: 1-line block ×3, first 2 shown]
	v_dual_add_f32 v79, v66, v70 :: v_dual_sub_f32 v108, v77, v73
	v_dual_add_f32 v83, v33, v63 :: v_dual_add_f32 v86, v35, v65
	v_sub_f32_e32 v88, v63, v67
	v_dual_add_f32 v90, v68, v72 :: v_dual_sub_f32 v91, v69, v73
	v_add_f32_e32 v82, v82, v103
	v_sub_f32_e32 v92, v64, v68
	v_add_f32_e32 v94, v69, v73
	v_dual_sub_f32 v98, v63, v75 :: v_dual_add_f32 v101, v64, v76
	v_sub_f32_e32 v104, v75, v71
	v_dual_sub_f32 v89, v67, v63 :: v_dual_sub_f32 v106, v76, v72
	v_add_f32_e32 v85, v34, v64
	v_dual_sub_f32 v64, v64, v76 :: v_dual_add_f32 v63, v63, v75
	v_sub_f32_e32 v80, v67, v71
	v_sub_f32_e32 v96, v65, v69
	;; [unrolled: 1-line block ×3, first 2 shown]
	v_fma_f32 v79, -0.5, v79, v32
	v_sub_f32_e32 v97, v69, v65
	v_add_f32_e32 v69, v86, v69
	v_sub_f32_e32 v95, v68, v72
	v_fma_f32 v86, -0.5, v63, v33
	v_fma_f32 v63, -0.5, v90, v34
	v_add_f32_e32 v99, v62, v74
	v_add_f32_e32 v90, v92, v106
	v_dual_sub_f32 v81, v62, v66 :: v_dual_add_f32 v68, v85, v68
	v_add_f32_e32 v66, v78, v66
	v_fma_f32 v78, -0.5, v94, v35
	v_dual_add_f32 v65, v65, v77 :: v_dual_sub_f32 v62, v62, v74
	v_sub_f32_e32 v102, v74, v70
	v_fma_f32 v85, -0.5, v99, v32
	v_add_f32_e32 v32, v66, v70
	v_add_f32_e32 v92, v93, v107
	v_fmamk_f32 v70, v100, 0xbf737871, v63
	v_dual_fmac_f32 v35, -0.5, v65 :: v_dual_fmamk_f32 v94, v87, 0xbf737871, v86
	v_dual_fmac_f32 v86, 0x3f737871, v87 :: v_dual_add_f32 v65, v68, v72
	v_fmamk_f32 v68, v98, 0xbf737871, v79
	v_add_f32_e32 v84, v67, v71
	v_fmac_f32_e32 v70, 0xbf167918, v91
	s_delay_alu instid0(VALU_DEP_4)
	v_dual_fmac_f32 v86, 0xbf167918, v62 :: v_dual_sub_f32 v109, v73, v77
	v_add_f32_e32 v74, v32, v74
	v_fmac_f32_e32 v68, 0xbf167918, v80
	v_dual_add_f32 v66, v69, v73 :: v_dual_add_f32 v67, v83, v67
	v_fma_f32 v84, -0.5, v84, v33
	v_fma_f32 v34, -0.5, v101, v34
	v_fmamk_f32 v72, v64, 0x3f737871, v78
	s_delay_alu instid0(VALU_DEP_4)
	v_dual_add_f32 v66, v66, v77 :: v_dual_add_f32 v81, v81, v102
	v_dual_add_f32 v33, v67, v71 :: v_dual_fmac_f32 v94, 0x3f167918, v62
	v_fmac_f32_e32 v78, 0xbf737871, v64
	v_dual_add_f32 v65, v65, v76 :: v_dual_fmac_f32 v70, 0x3e9e377a, v90
	v_fmamk_f32 v67, v95, 0xbf737871, v35
	v_sub_f32_e32 v105, v71, v75
	s_delay_alu instid0(VALU_DEP_4)
	v_dual_add_f32 v93, v96, v108 :: v_dual_fmac_f32 v78, 0xbf167918, v95
	v_fmac_f32_e32 v35, 0x3f737871, v95
	v_fmac_f32_e32 v72, 0x3f167918, v95
	v_dual_add_f32 v75, v33, v75 :: v_dual_fmac_f32 v68, 0x3e9e377a, v81
	v_fmamk_f32 v71, v91, 0x3f737871, v34
	v_dual_fmac_f32 v34, 0xbf737871, v91 :: v_dual_add_f32 v83, v97, v109
	v_dual_add_f32 v32, v74, v65 :: v_dual_fmac_f32 v67, 0x3f167918, v64
	v_fmamk_f32 v73, v62, 0x3f737871, v84
	s_delay_alu instid0(VALU_DEP_3)
	v_fmac_f32_e32 v34, 0x3f167918, v100
	v_fmac_f32_e32 v78, 0x3e9e377a, v93
	;; [unrolled: 1-line block ×5, first 2 shown]
	v_dual_add_f32 v33, v75, v66 :: v_dual_fmac_f32 v72, 0x3e9e377a, v93
	v_mul_f32_e32 v76, 0xbf167918, v78
	v_mul_f32_e32 v77, 0x3f167918, v70
	s_delay_alu instid0(VALU_DEP_4)
	v_dual_fmac_f32 v35, 0x3e9e377a, v83 :: v_dual_fmac_f32 v34, 0x3e9e377a, v92
	v_dual_add_f32 v88, v88, v104 :: v_dual_add_f32 v89, v89, v105
	v_fmac_f32_e32 v84, 0xbf167918, v87
	v_dual_sub_f32 v64, v74, v65 :: v_dual_sub_f32 v65, v75, v66
	v_fmac_f32_e32 v77, 0x3f4f1bbd, v72
	v_mul_f32_e32 v74, 0xbf737871, v35
	v_mul_f32_e32 v75, 0xbe9e377a, v35
	;; [unrolled: 1-line block ×5, first 2 shown]
	v_fmac_f32_e32 v74, 0xbe9e377a, v34
	v_fmamk_f32 v69, v80, 0x3f737871, v85
	v_fmac_f32_e32 v35, 0x3f4f1bbd, v70
	v_fmac_f32_e32 v85, 0xbf737871, v80
	;; [unrolled: 1-line block ×5, first 2 shown]
	v_dual_sub_f32 v66, v68, v35 :: v_dual_fmac_f32 v71, 0xbf167918, v100
	v_add_f32_e32 v34, v68, v35
	v_fmac_f32_e32 v86, 0x3e9e377a, v89
	s_delay_alu instid0(VALU_DEP_3) | instskip(SKIP_1) | instid1(VALU_DEP_2)
	v_dual_fmac_f32 v94, 0x3e9e377a, v89 :: v_dual_fmac_f32 v71, 0x3e9e377a, v92
	v_fmac_f32_e32 v79, 0x3f737871, v98
	v_fmac_f32_e32 v62, 0x3e9e377a, v71
	;; [unrolled: 1-line block ×3, first 2 shown]
	s_delay_alu instid0(VALU_DEP_1) | instskip(NEXT) | instid1(VALU_DEP_4)
	v_fmac_f32_e32 v63, 0x3e9e377a, v90
	v_fmac_f32_e32 v79, 0x3f167918, v80
	v_mul_f32_e32 v80, 0x3e9e377a, v67
	s_delay_alu instid0(VALU_DEP_3) | instskip(NEXT) | instid1(VALU_DEP_3)
	v_fmac_f32_e32 v78, 0x3f167918, v63
	v_fmac_f32_e32 v79, 0x3e9e377a, v81
	;; [unrolled: 1-line block ×3, first 2 shown]
	s_delay_alu instid0(VALU_DEP_3) | instskip(SKIP_1) | instid1(VALU_DEP_2)
	v_dual_fmac_f32 v80, 0x3f737871, v71 :: v_dual_add_f32 v63, v84, v78
	v_fmac_f32_e32 v85, 0x3f167918, v98
	v_add_f32_e32 v71, v94, v80
	s_delay_alu instid0(VALU_DEP_2) | instskip(NEXT) | instid1(VALU_DEP_1)
	v_fmac_f32_e32 v85, 0x3e9e377a, v82
	v_add_f32_e32 v72, v85, v74
	v_fmac_f32_e32 v69, 0xbf167918, v98
	v_sub_f32_e32 v74, v85, v74
	s_delay_alu instid0(VALU_DEP_2) | instskip(NEXT) | instid1(VALU_DEP_1)
	v_fmac_f32_e32 v69, 0x3e9e377a, v82
	v_dual_sub_f32 v68, v69, v62 :: v_dual_fmac_f32 v73, 0x3f167918, v87
	v_add_f32_e32 v70, v69, v62
	v_add_f32_e32 v62, v79, v76
	v_sub_f32_e32 v69, v94, v80
	v_sub_f32_e32 v76, v79, v76
	v_fmac_f32_e32 v73, 0x3e9e377a, v88
	s_delay_alu instid0(VALU_DEP_1)
	v_add_f32_e32 v35, v73, v77
	v_sub_f32_e32 v67, v73, v77
	v_add_f32_e32 v73, v86, v75
	v_sub_f32_e32 v75, v86, v75
	v_sub_f32_e32 v77, v84, v78
	ds_store_b128 v59, v[32:35]
	ds_store_b128 v59, v[70:73] offset:16
	ds_store_b128 v59, v[62:65] offset:32
	;; [unrolled: 1-line block ×4, first 2 shown]
	s_waitcnt lgkmcnt(0)
	s_barrier
	buffer_gl0_inv
	ds_load_2addr_b64 v[32:35], v58 offset0:50 offset1:75
	ds_load_2addr_b64 v[62:65], v58 offset0:100 offset1:125
	;; [unrolled: 1-line block ×4, first 2 shown]
	ds_load_2addr_b64 v[74:77], v58 offset1:25
	s_waitcnt lgkmcnt(0)
	s_barrier
	buffer_gl0_inv
	v_dual_mul_f32 v59, v13, v33 :: v_dual_mul_f32 v78, v15, v63
	v_dual_mul_f32 v13, v13, v32 :: v_dual_mul_f32 v82, v7, v65
	v_mul_f32_e32 v84, v3, v73
	s_delay_alu instid0(VALU_DEP_3)
	v_dual_mul_f32 v3, v3, v72 :: v_dual_fmac_f32 v78, v14, v62
	v_mul_f32_e32 v83, v1, v69
	v_fmac_f32_e32 v59, v12, v32
	v_fma_f32 v12, v12, v33, -v13
	v_fmac_f32_e32 v82, v6, v64
	v_fma_f32 v33, v2, v73, -v3
	v_mul_f32_e32 v81, v5, v35
	v_fmac_f32_e32 v83, v0, v68
	v_mul_f32_e32 v5, v5, v34
	v_mul_f32_e32 v79, v9, v67
	s_delay_alu instid0(VALU_DEP_4) | instskip(NEXT) | instid1(VALU_DEP_4)
	v_dual_mul_f32 v80, v11, v71 :: v_dual_fmac_f32 v81, v4, v34
	v_sub_f32_e32 v88, v82, v83
	s_delay_alu instid0(VALU_DEP_4) | instskip(SKIP_1) | instid1(VALU_DEP_4)
	v_fma_f32 v4, v4, v35, -v5
	v_fmac_f32_e32 v84, v2, v72
	v_fmac_f32_e32 v80, v10, v70
	s_delay_alu instid0(VALU_DEP_3) | instskip(SKIP_3) | instid1(VALU_DEP_3)
	v_add_f32_e32 v86, v77, v4
	v_mul_f32_e32 v9, v9, v66
	v_mul_f32_e32 v7, v7, v64
	v_add_f32_e32 v72, v81, v84
	v_fma_f32 v9, v8, v67, -v9
	v_mul_f32_e32 v15, v15, v62
	s_delay_alu instid0(VALU_DEP_1) | instskip(SKIP_3) | instid1(VALU_DEP_4)
	v_fma_f32 v13, v14, v63, -v15
	v_mul_f32_e32 v11, v11, v70
	v_sub_f32_e32 v70, v81, v82
	v_fma_f32 v5, v6, v65, -v7
	v_sub_f32_e32 v62, v12, v13
	s_delay_alu instid0(VALU_DEP_4) | instskip(SKIP_1) | instid1(VALU_DEP_4)
	v_fma_f32 v15, v10, v71, -v11
	v_fmac_f32_e32 v79, v8, v66
	v_sub_f32_e32 v89, v4, v5
	v_sub_f32_e32 v34, v13, v9
	v_add_f32_e32 v10, v75, v12
	v_sub_f32_e32 v63, v15, v9
	v_sub_f32_e32 v3, v80, v79
	;; [unrolled: 1-line block ×4, first 2 shown]
	v_add_f32_e32 v66, v76, v81
	v_add_f32_e32 v62, v62, v63
	v_dual_sub_f32 v2, v59, v78 :: v_dual_mul_f32 v1, v1, v68
	v_dual_add_f32 v6, v59, v80 :: v_dual_sub_f32 v7, v78, v59
	s_delay_alu instid0(VALU_DEP_2) | instskip(NEXT) | instid1(VALU_DEP_3)
	v_dual_sub_f32 v35, v59, v80 :: v_dual_add_f32 v94, v2, v3
	v_fma_f32 v11, v0, v69, -v1
	v_add_f32_e32 v0, v74, v59
	v_dual_add_f32 v1, v78, v79 :: v_dual_sub_f32 v92, v5, v4
	v_sub_f32_e32 v59, v78, v79
	v_fma_f32 v2, -0.5, v6, v74
	s_delay_alu instid0(VALU_DEP_4) | instskip(NEXT) | instid1(VALU_DEP_4)
	v_add_f32_e32 v78, v0, v78
	v_fma_f32 v0, -0.5, v1, v74
	v_add_f32_e32 v14, v13, v9
	v_sub_f32_e32 v65, v9, v15
	v_add_f32_e32 v64, v12, v15
	v_sub_f32_e32 v68, v4, v33
	v_dual_fmamk_f32 v6, v32, 0xbf737871, v0 :: v_dual_add_f32 v95, v7, v8
	v_fmamk_f32 v8, v34, 0x3f737871, v2
	v_add_f32_e32 v7, v10, v13
	v_add_f32_e32 v10, v66, v82
	v_dual_add_f32 v67, v82, v83 :: v_dual_fmac_f32 v2, 0xbf737871, v34
	v_fma_f32 v1, -0.5, v14, v75
	v_dual_add_f32 v14, v78, v79 :: v_dual_add_f32 v91, v4, v33
	s_delay_alu instid0(VALU_DEP_3) | instskip(SKIP_4) | instid1(VALU_DEP_4)
	v_fma_f32 v4, -0.5, v67, v76
	v_dual_sub_f32 v71, v84, v83 :: v_dual_sub_f32 v12, v13, v12
	v_fma_f32 v3, -0.5, v64, v75
	v_fma_f32 v76, -0.5, v72, v76
	v_dual_fmac_f32 v8, 0xbf167918, v32 :: v_dual_sub_f32 v69, v5, v11
	v_add_f32_e32 v64, v70, v71
	v_dual_add_f32 v70, v7, v9 :: v_dual_add_f32 v87, v5, v11
	v_sub_f32_e32 v73, v82, v81
	v_sub_f32_e32 v85, v83, v84
	v_dual_sub_f32 v81, v81, v84 :: v_dual_fmac_f32 v6, 0xbf167918, v34
	v_dual_add_f32 v63, v12, v65 :: v_dual_fmac_f32 v2, 0x3f167918, v32
	v_dual_fmamk_f32 v12, v69, 0x3f737871, v76 :: v_dual_add_f32 v13, v86, v5
	v_fmac_f32_e32 v76, 0xbf737871, v69
	v_fma_f32 v5, -0.5, v87, v77
	v_dual_add_f32 v71, v10, v83 :: v_dual_fmac_f32 v6, 0x3e9e377a, v94
	v_fmamk_f32 v10, v68, 0xbf737871, v4
	v_fmac_f32_e32 v4, 0x3f737871, v68
	v_dual_add_f32 v14, v14, v80 :: v_dual_fmac_f32 v77, -0.5, v91
	v_dual_fmamk_f32 v7, v35, 0x3f737871, v1 :: v_dual_fmac_f32 v0, 0x3f737871, v32
	v_fmamk_f32 v9, v59, 0xbf737871, v3
	v_fmac_f32_e32 v3, 0x3f737871, v59
	v_fmac_f32_e32 v1, 0xbf737871, v35
	v_dual_sub_f32 v90, v33, v11 :: v_dual_sub_f32 v93, v11, v33
	v_fmac_f32_e32 v0, 0x3f167918, v34
	v_fmac_f32_e32 v12, 0xbf167918, v68
	v_add_f32_e32 v72, v13, v11
	v_fmamk_f32 v11, v81, 0x3f737871, v5
	v_fmac_f32_e32 v5, 0xbf737871, v81
	v_fmac_f32_e32 v4, 0x3f167918, v69
	v_fmamk_f32 v13, v88, 0xbf737871, v77
	v_fmac_f32_e32 v77, 0x3f737871, v88
	v_fmac_f32_e32 v7, 0x3f167918, v59
	;; [unrolled: 1-line block ×5, first 2 shown]
	v_dual_add_f32 v65, v73, v85 :: v_dual_add_f32 v32, v71, v84
	v_dual_add_f32 v66, v89, v90 :: v_dual_add_f32 v67, v92, v93
	v_fmac_f32_e32 v76, 0x3f167918, v68
	v_fmac_f32_e32 v10, 0xbf167918, v69
	v_fmac_f32_e32 v11, 0x3f167918, v88
	v_fmac_f32_e32 v5, 0xbf167918, v88
	v_fmac_f32_e32 v13, 0x3f167918, v81
	v_fmac_f32_e32 v77, 0xbf167918, v81
	v_dual_add_f32 v15, v70, v15 :: v_dual_fmac_f32 v0, 0x3e9e377a, v94
	v_dual_fmac_f32 v2, 0x3e9e377a, v95 :: v_dual_fmac_f32 v7, 0x3e9e377a, v62
	v_dual_add_f32 v33, v72, v33 :: v_dual_fmac_f32 v8, 0x3e9e377a, v95
	v_dual_fmac_f32 v9, 0x3e9e377a, v63 :: v_dual_fmac_f32 v4, 0x3e9e377a, v64
	v_dual_fmac_f32 v3, 0x3e9e377a, v63 :: v_dual_fmac_f32 v12, 0x3e9e377a, v65
	;; [unrolled: 1-line block ×4, first 2 shown]
	v_fmac_f32_e32 v5, 0x3e9e377a, v66
	v_fmac_f32_e32 v13, 0x3e9e377a, v67
	;; [unrolled: 1-line block ×3, first 2 shown]
	ds_store_2addr_b64 v61, v[14:15], v[6:7] offset1:10
	ds_store_2addr_b64 v61, v[8:9], v[2:3] offset0:20 offset1:30
	ds_store_b64 v61, v[0:1] offset:320
	ds_store_2addr_b64 v60, v[32:33], v[10:11] offset1:10
	ds_store_2addr_b64 v60, v[12:13], v[76:77] offset0:20 offset1:30
	ds_store_b64 v60, v[4:5] offset:320
	s_waitcnt lgkmcnt(0)
	s_barrier
	buffer_gl0_inv
	ds_load_2addr_b64 v[0:3], v58 offset0:50 offset1:75
	ds_load_2addr_b64 v[4:7], v58 offset0:100 offset1:125
	;; [unrolled: 1-line block ×4, first 2 shown]
	ds_load_2addr_b64 v[32:35], v58 offset1:25
	s_waitcnt lgkmcnt(3)
	v_mul_f32_e32 v64, v23, v7
	s_waitcnt lgkmcnt(2)
	v_dual_mul_f32 v60, v31, v5 :: v_dual_mul_f32 v65, v17, v11
	s_waitcnt lgkmcnt(1)
	v_mul_f32_e32 v66, v19, v15
	v_mul_f32_e32 v19, v19, v14
	v_fmac_f32_e32 v64, v22, v6
	v_dual_mul_f32 v17, v17, v10 :: v_dual_fmac_f32 v60, v30, v4
	v_dual_mul_f32 v62, v27, v13 :: v_dual_fmac_f32 v65, v16, v10
	v_fmac_f32_e32 v66, v18, v14
	s_delay_alu instid0(VALU_DEP_3)
	v_fma_f32 v11, v16, v11, -v17
	v_fma_f32 v17, v18, v15, -v19
	v_mul_f32_e32 v63, v21, v3
	v_mul_f32_e32 v21, v21, v2
	;; [unrolled: 1-line block ×3, first 2 shown]
	v_fmac_f32_e32 v62, v26, v12
	s_delay_alu instid0(VALU_DEP_4)
	v_dual_sub_f32 v76, v11, v17 :: v_dual_fmac_f32 v63, v20, v2
	v_mul_f32_e32 v59, v29, v1
	v_mul_f32_e32 v61, v25, v9
	v_fma_f32 v2, v20, v3, -v21
	v_mul_f32_e32 v25, v25, v8
	v_mul_f32_e32 v29, v29, v0
	v_dual_mul_f32 v31, v31, v4 :: v_dual_sub_f32 v68, v65, v66
	s_delay_alu instid0(VALU_DEP_4) | instskip(NEXT) | instid1(VALU_DEP_4)
	v_dual_fmac_f32 v61, v24, v8 :: v_dual_add_f32 v74, v2, v17
	v_fma_f32 v9, v24, v9, -v25
	v_fma_f32 v24, v26, v13, -v27
	s_waitcnt lgkmcnt(0)
	v_dual_add_f32 v26, v34, v63 :: v_dual_fmac_f32 v59, v28, v0
	v_sub_f32_e32 v12, v61, v62
	v_fma_f32 v0, v28, v1, -v29
	v_fma_f32 v1, v30, v5, -v31
	v_add_f32_e32 v4, v60, v61
	v_dual_sub_f32 v10, v60, v59 :: v_dual_mul_f32 v23, v23, v6
	v_sub_f32_e32 v6, v59, v60
	s_delay_alu instid0(VALU_DEP_4) | instskip(SKIP_1) | instid1(VALU_DEP_4)
	v_sub_f32_e32 v16, v1, v9
	v_dual_add_f32 v13, v33, v0 :: v_dual_sub_f32 v20, v0, v1
	v_fma_f32 v5, v22, v7, -v23
	v_dual_sub_f32 v7, v62, v61 :: v_dual_add_f32 v22, v0, v24
	v_dual_sub_f32 v28, v2, v17 :: v_dual_sub_f32 v23, v1, v0
	s_delay_alu instid0(VALU_DEP_3) | instskip(SKIP_4) | instid1(VALU_DEP_3)
	v_sub_f32_e32 v29, v5, v11
	v_sub_f32_e32 v15, v0, v24
	v_fma_f32 v0, -0.5, v4, v32
	v_add_f32_e32 v77, v6, v7
	v_dual_add_f32 v69, v35, v2 :: v_dual_sub_f32 v72, v2, v5
	v_dual_sub_f32 v75, v5, v2 :: v_dual_fmamk_f32 v6, v15, 0xbf737871, v0
	v_add_f32_e32 v8, v59, v62
	v_sub_f32_e32 v18, v59, v62
	v_add_f32_e32 v14, v1, v9
	v_add_f32_e32 v70, v5, v11
	v_fmac_f32_e32 v6, 0xbf167918, v16
	v_fma_f32 v2, -0.5, v8, v32
	s_delay_alu instid0(VALU_DEP_2) | instskip(NEXT) | instid1(VALU_DEP_2)
	v_fmac_f32_e32 v6, 0x3e9e377a, v77
	v_fmamk_f32 v8, v16, 0x3f737871, v2
	v_dual_fmac_f32 v2, 0xbf737871, v16 :: v_dual_add_f32 v27, v64, v65
	v_dual_add_f32 v3, v32, v59 :: v_dual_add_f32 v32, v10, v12
	v_add_f32_e32 v10, v26, v64
	v_add_f32_e32 v26, v75, v76
	;; [unrolled: 1-line block ×3, first 2 shown]
	v_fma_f32 v4, -0.5, v27, v34
	v_sub_f32_e32 v30, v63, v64
	s_delay_alu instid0(VALU_DEP_3) | instskip(NEXT) | instid1(VALU_DEP_1)
	v_fma_f32 v34, -0.5, v59, v34
	v_fmamk_f32 v12, v29, 0x3f737871, v34
	v_dual_fmac_f32 v2, 0x3f167918, v15 :: v_dual_sub_f32 v31, v66, v65
	v_fmac_f32_e32 v8, 0xbf167918, v15
	v_dual_fmac_f32 v0, 0x3f737871, v15 :: v_dual_sub_f32 v19, v60, v61
	v_add_f32_e32 v60, v3, v60
	v_fma_f32 v3, -0.5, v22, v33
	v_add_f32_e32 v22, v30, v31
	v_add_f32_e32 v30, v10, v65
	v_fmamk_f32 v10, v28, 0xbf737871, v4
	v_dual_fmac_f32 v4, 0x3f737871, v28 :: v_dual_sub_f32 v67, v64, v63
	v_dual_add_f32 v7, v13, v1 :: v_dual_fmac_f32 v2, 0x3e9e377a, v32
	v_fma_f32 v1, -0.5, v14, v33
	v_add_f32_e32 v14, v60, v61
	v_dual_sub_f32 v21, v24, v9 :: v_dual_fmac_f32 v0, 0x3f167918, v16
	v_dual_sub_f32 v25, v9, v24 :: v_dual_fmac_f32 v34, 0xbf737871, v29
	;; [unrolled: 1-line block ×3, first 2 shown]
	v_fmac_f32_e32 v10, 0xbf167918, v29
	v_add_f32_e32 v13, v69, v5
	v_fma_f32 v5, -0.5, v70, v35
	v_dual_sub_f32 v71, v64, v65 :: v_dual_fmac_f32 v12, 0xbf167918, v28
	v_dual_sub_f32 v73, v17, v11 :: v_dual_fmac_f32 v34, 0x3f167918, v28
	v_add_f32_e32 v14, v14, v62
	v_add_f32_e32 v20, v20, v21
	v_dual_add_f32 v21, v23, v25 :: v_dual_fmac_f32 v10, 0x3e9e377a, v22
	v_add_f32_e32 v16, v30, v66
	v_fmac_f32_e32 v8, 0x3e9e377a, v32
	v_dual_add_f32 v23, v67, v68 :: v_dual_fmac_f32 v0, 0x3e9e377a, v77
	v_fmac_f32_e32 v35, -0.5, v74
	v_add_f32_e32 v27, v7, v9
	v_fmamk_f32 v7, v18, 0x3f737871, v1
	v_dual_fmac_f32 v4, 0x3e9e377a, v22 :: v_dual_add_f32 v31, v13, v11
	v_fmamk_f32 v11, v63, 0x3f737871, v5
	v_fmamk_f32 v9, v19, 0xbf737871, v3
	v_fmac_f32_e32 v34, 0x3e9e377a, v23
	v_fmamk_f32 v13, v71, 0xbf737871, v35
	v_fmac_f32_e32 v3, 0x3f737871, v19
	v_fmac_f32_e32 v35, 0x3f737871, v71
	;; [unrolled: 1-line block ×4, first 2 shown]
	v_dual_add_f32 v25, v72, v73 :: v_dual_fmac_f32 v12, 0x3e9e377a, v23
	v_fmac_f32_e32 v7, 0x3f167918, v19
	v_fmac_f32_e32 v11, 0x3f167918, v71
	;; [unrolled: 1-line block ×8, first 2 shown]
	v_add_f32_e32 v15, v27, v24
	v_add_f32_e32 v17, v31, v17
	v_fmac_f32_e32 v7, 0x3e9e377a, v20
	v_fmac_f32_e32 v11, 0x3e9e377a, v25
	;; [unrolled: 1-line block ×8, first 2 shown]
	ds_store_2addr_b64 v58, v[14:15], v[16:17] offset1:25
	ds_store_2addr_b64 v58, v[6:7], v[10:11] offset0:50 offset1:75
	ds_store_2addr_b64 v58, v[8:9], v[12:13] offset0:100 offset1:125
	ds_store_2addr_b64 v58, v[2:3], v[34:35] offset0:150 offset1:175
	ds_store_2addr_b64 v58, v[0:1], v[4:5] offset0:200 offset1:225
	s_waitcnt lgkmcnt(0)
	s_barrier
	buffer_gl0_inv
	ds_load_2addr_b64 v[0:3], v58 offset1:25
	ds_load_2addr_b64 v[4:7], v58 offset0:50 offset1:75
	ds_load_2addr_b64 v[8:11], v58 offset0:100 offset1:125
	;; [unrolled: 1-line block ×4, first 2 shown]
	v_mad_u64_u32 v[20:21], null, s6, v36, 0
	v_mad_u64_u32 v[22:23], null, s4, v57, 0
	s_mul_hi_u32 s6, s4, 0xc8
	s_mulk_i32 s4, 0xc8
	s_delay_alu instid0(VALU_DEP_1)
	v_mad_u64_u32 v[24:25], null, s7, v36, v[21:22]
	s_waitcnt lgkmcnt(4)
	v_mul_f32_e32 v21, v48, v1
	v_mul_f32_e32 v25, v48, v0
	;; [unrolled: 1-line block ×4, first 2 shown]
	s_waitcnt lgkmcnt(3)
	v_mul_f32_e32 v28, v40, v5
	v_dual_mul_f32 v29, v40, v4 :: v_dual_mul_f32 v30, v38, v7
	s_waitcnt lgkmcnt(2)
	v_dual_mul_f32 v31, v38, v6 :: v_dual_mul_f32 v32, v52, v9
	v_dual_mul_f32 v33, v52, v8 :: v_dual_mul_f32 v34, v50, v11
	v_mul_f32_e32 v35, v50, v10
	v_fmac_f32_e32 v21, v47, v0
	v_fma_f32 v25, v47, v1, -v25
	s_waitcnt lgkmcnt(1)
	v_mul_f32_e32 v36, v46, v13
	v_mul_f32_e32 v38, v46, v12
	v_fmac_f32_e32 v26, v43, v2
	v_fma_f32 v27, v43, v3, -v27
	v_mul_f32_e32 v40, v42, v15
	v_mul_f32_e32 v42, v42, v14
	v_fmac_f32_e32 v28, v39, v4
	v_fma_f32 v29, v39, v5, -v29
	s_waitcnt lgkmcnt(0)
	v_mul_f32_e32 v44, v54, v17
	v_mul_f32_e32 v46, v54, v16
	v_fmac_f32_e32 v30, v37, v6
	v_fma_f32 v31, v37, v7, -v31
	v_mul_f32_e32 v48, v56, v19
	v_fmac_f32_e32 v44, v53, v16
	v_mul_f32_e32 v50, v56, v18
	v_fmac_f32_e32 v32, v51, v8
	v_fma_f32 v33, v51, v9, -v33
	v_fmac_f32_e32 v34, v49, v10
	v_fma_f32 v35, v49, v11, -v35
	v_cvt_f64_f32_e32 v[0:1], v21
	v_cvt_f64_f32_e32 v[2:3], v25
	v_fmac_f32_e32 v36, v45, v12
	v_fma_f32 v37, v45, v13, -v38
	v_cvt_f64_f32_e32 v[4:5], v26
	v_cvt_f64_f32_e32 v[6:7], v27
	;; [unrolled: 4-line block ×3, first 2 shown]
	v_fma_f32 v39, v53, v17, -v46
	v_cvt_f64_f32_e32 v[12:13], v30
	v_cvt_f64_f32_e32 v[14:15], v31
	v_fmac_f32_e32 v48, v55, v18
	v_fma_f32 v43, v55, v19, -v50
	v_cvt_f64_f32_e32 v[16:17], v32
	v_cvt_f64_f32_e32 v[18:19], v33
	v_cvt_f64_f32_e32 v[25:26], v34
	v_cvt_f64_f32_e32 v[27:28], v35
	v_cvt_f64_f32_e32 v[29:30], v36
	v_cvt_f64_f32_e32 v[31:32], v37
	v_cvt_f64_f32_e32 v[33:34], v40
	v_cvt_f64_f32_e32 v[35:36], v38
	v_cvt_f64_f32_e32 v[37:38], v44
	v_cvt_f64_f32_e32 v[39:40], v39
	v_cvt_f64_f32_e32 v[41:42], v48
	v_cvt_f64_f32_e32 v[43:44], v43
	v_mov_b32_e32 v21, v24
	v_mad_u64_u32 v[45:46], null, s5, v57, v[23:24]
	s_mulk_i32 s5, 0xc8
	s_delay_alu instid0(VALU_DEP_2) | instskip(SKIP_1) | instid1(VALU_DEP_2)
	v_lshlrev_b64 v[20:21], 3, v[20:21]
	s_add_i32 s6, s6, s5
	v_mov_b32_e32 v23, v45
	v_mul_f64 v[0:1], v[0:1], s[2:3]
	v_mul_f64 v[2:3], v[2:3], s[2:3]
	s_delay_alu instid0(VALU_DEP_4)
	v_add_co_u32 v45, vcc_lo, s0, v20
	v_mul_f64 v[4:5], v[4:5], s[2:3]
	v_mul_f64 v[6:7], v[6:7], s[2:3]
	v_add_co_ci_u32_e32 v46, vcc_lo, s1, v21, vcc_lo
	v_mul_f64 v[8:9], v[8:9], s[2:3]
	v_mul_f64 v[10:11], v[10:11], s[2:3]
	v_lshlrev_b64 v[22:23], 3, v[22:23]
	v_mul_f64 v[12:13], v[12:13], s[2:3]
	v_mul_f64 v[14:15], v[14:15], s[2:3]
	;; [unrolled: 1-line block ×14, first 2 shown]
	v_add_co_u32 v22, vcc_lo, v45, v22
	v_add_co_ci_u32_e32 v23, vcc_lo, v46, v23, vcc_lo
	s_delay_alu instid0(VALU_DEP_2) | instskip(NEXT) | instid1(VALU_DEP_2)
	v_add_co_u32 v42, vcc_lo, v22, s4
	v_add_co_ci_u32_e32 v43, vcc_lo, s6, v23, vcc_lo
	s_delay_alu instid0(VALU_DEP_2) | instskip(SKIP_2) | instid1(VALU_DEP_4)
	v_add_co_u32 v44, vcc_lo, v42, s4
	v_cvt_f32_f64_e32 v0, v[0:1]
	v_cvt_f32_f64_e32 v1, v[2:3]
	v_add_co_ci_u32_e32 v45, vcc_lo, s6, v43, vcc_lo
	v_cvt_f32_f64_e32 v2, v[4:5]
	v_cvt_f32_f64_e32 v3, v[6:7]
	v_add_co_u32 v46, vcc_lo, v44, s4
	v_cvt_f32_f64_e32 v4, v[8:9]
	v_cvt_f32_f64_e32 v5, v[10:11]
	;; [unrolled: 1-line block ×4, first 2 shown]
	v_add_co_ci_u32_e32 v47, vcc_lo, s6, v45, vcc_lo
	v_cvt_f32_f64_e32 v8, v[16:17]
	v_cvt_f32_f64_e32 v9, v[18:19]
	;; [unrolled: 1-line block ×12, first 2 shown]
	v_add_co_u32 v20, vcc_lo, v46, s4
	v_add_co_ci_u32_e32 v21, vcc_lo, s6, v47, vcc_lo
	s_delay_alu instid0(VALU_DEP_2) | instskip(NEXT) | instid1(VALU_DEP_2)
	v_add_co_u32 v24, vcc_lo, v20, s4
	v_add_co_ci_u32_e32 v25, vcc_lo, s6, v21, vcc_lo
	s_delay_alu instid0(VALU_DEP_2) | instskip(NEXT) | instid1(VALU_DEP_2)
	;; [unrolled: 3-line block ×5, first 2 shown]
	v_add_co_u32 v32, vcc_lo, v30, s4
	v_add_co_ci_u32_e32 v33, vcc_lo, s6, v31, vcc_lo
	s_clause 0x4
	global_store_b64 v[22:23], v[0:1], off
	global_store_b64 v[42:43], v[2:3], off
	;; [unrolled: 1-line block ×10, first 2 shown]
.LBB0_2:
	s_nop 0
	s_sendmsg sendmsg(MSG_DEALLOC_VGPRS)
	s_endpgm
	.section	.rodata,"a",@progbits
	.p2align	6, 0x0
	.amdhsa_kernel bluestein_single_back_len250_dim1_sp_op_CI_CI
		.amdhsa_group_segment_fixed_size 10000
		.amdhsa_private_segment_fixed_size 0
		.amdhsa_kernarg_size 104
		.amdhsa_user_sgpr_count 15
		.amdhsa_user_sgpr_dispatch_ptr 0
		.amdhsa_user_sgpr_queue_ptr 0
		.amdhsa_user_sgpr_kernarg_segment_ptr 1
		.amdhsa_user_sgpr_dispatch_id 0
		.amdhsa_user_sgpr_private_segment_size 0
		.amdhsa_wavefront_size32 1
		.amdhsa_uses_dynamic_stack 0
		.amdhsa_enable_private_segment 0
		.amdhsa_system_sgpr_workgroup_id_x 1
		.amdhsa_system_sgpr_workgroup_id_y 0
		.amdhsa_system_sgpr_workgroup_id_z 0
		.amdhsa_system_sgpr_workgroup_info 0
		.amdhsa_system_vgpr_workitem_id 0
		.amdhsa_next_free_vgpr 115
		.amdhsa_next_free_sgpr 20
		.amdhsa_reserve_vcc 1
		.amdhsa_float_round_mode_32 0
		.amdhsa_float_round_mode_16_64 0
		.amdhsa_float_denorm_mode_32 3
		.amdhsa_float_denorm_mode_16_64 3
		.amdhsa_dx10_clamp 1
		.amdhsa_ieee_mode 1
		.amdhsa_fp16_overflow 0
		.amdhsa_workgroup_processor_mode 1
		.amdhsa_memory_ordered 1
		.amdhsa_forward_progress 0
		.amdhsa_shared_vgpr_count 0
		.amdhsa_exception_fp_ieee_invalid_op 0
		.amdhsa_exception_fp_denorm_src 0
		.amdhsa_exception_fp_ieee_div_zero 0
		.amdhsa_exception_fp_ieee_overflow 0
		.amdhsa_exception_fp_ieee_underflow 0
		.amdhsa_exception_fp_ieee_inexact 0
		.amdhsa_exception_int_div_zero 0
	.end_amdhsa_kernel
	.text
.Lfunc_end0:
	.size	bluestein_single_back_len250_dim1_sp_op_CI_CI, .Lfunc_end0-bluestein_single_back_len250_dim1_sp_op_CI_CI
                                        ; -- End function
	.section	.AMDGPU.csdata,"",@progbits
; Kernel info:
; codeLenInByte = 8336
; NumSgprs: 22
; NumVgprs: 115
; ScratchSize: 0
; MemoryBound: 0
; FloatMode: 240
; IeeeMode: 1
; LDSByteSize: 10000 bytes/workgroup (compile time only)
; SGPRBlocks: 2
; VGPRBlocks: 14
; NumSGPRsForWavesPerEU: 22
; NumVGPRsForWavesPerEU: 115
; Occupancy: 12
; WaveLimiterHint : 1
; COMPUTE_PGM_RSRC2:SCRATCH_EN: 0
; COMPUTE_PGM_RSRC2:USER_SGPR: 15
; COMPUTE_PGM_RSRC2:TRAP_HANDLER: 0
; COMPUTE_PGM_RSRC2:TGID_X_EN: 1
; COMPUTE_PGM_RSRC2:TGID_Y_EN: 0
; COMPUTE_PGM_RSRC2:TGID_Z_EN: 0
; COMPUTE_PGM_RSRC2:TIDIG_COMP_CNT: 0
	.text
	.p2alignl 7, 3214868480
	.fill 96, 4, 3214868480
	.type	__hip_cuid_671f357d5abe393,@object ; @__hip_cuid_671f357d5abe393
	.section	.bss,"aw",@nobits
	.globl	__hip_cuid_671f357d5abe393
__hip_cuid_671f357d5abe393:
	.byte	0                               ; 0x0
	.size	__hip_cuid_671f357d5abe393, 1

	.ident	"AMD clang version 19.0.0git (https://github.com/RadeonOpenCompute/llvm-project roc-6.4.0 25133 c7fe45cf4b819c5991fe208aaa96edf142730f1d)"
	.section	".note.GNU-stack","",@progbits
	.addrsig
	.addrsig_sym __hip_cuid_671f357d5abe393
	.amdgpu_metadata
---
amdhsa.kernels:
  - .args:
      - .actual_access:  read_only
        .address_space:  global
        .offset:         0
        .size:           8
        .value_kind:     global_buffer
      - .actual_access:  read_only
        .address_space:  global
        .offset:         8
        .size:           8
        .value_kind:     global_buffer
      - .actual_access:  read_only
        .address_space:  global
        .offset:         16
        .size:           8
        .value_kind:     global_buffer
      - .actual_access:  read_only
        .address_space:  global
        .offset:         24
        .size:           8
        .value_kind:     global_buffer
      - .actual_access:  read_only
        .address_space:  global
        .offset:         32
        .size:           8
        .value_kind:     global_buffer
      - .offset:         40
        .size:           8
        .value_kind:     by_value
      - .address_space:  global
        .offset:         48
        .size:           8
        .value_kind:     global_buffer
      - .address_space:  global
        .offset:         56
        .size:           8
        .value_kind:     global_buffer
      - .address_space:  global
        .offset:         64
        .size:           8
        .value_kind:     global_buffer
      - .address_space:  global
        .offset:         72
        .size:           8
        .value_kind:     global_buffer
      - .offset:         80
        .size:           4
        .value_kind:     by_value
      - .address_space:  global
        .offset:         88
        .size:           8
        .value_kind:     global_buffer
      - .address_space:  global
        .offset:         96
        .size:           8
        .value_kind:     global_buffer
    .group_segment_fixed_size: 10000
    .kernarg_segment_align: 8
    .kernarg_segment_size: 104
    .language:       OpenCL C
    .language_version:
      - 2
      - 0
    .max_flat_workgroup_size: 125
    .name:           bluestein_single_back_len250_dim1_sp_op_CI_CI
    .private_segment_fixed_size: 0
    .sgpr_count:     22
    .sgpr_spill_count: 0
    .symbol:         bluestein_single_back_len250_dim1_sp_op_CI_CI.kd
    .uniform_work_group_size: 1
    .uses_dynamic_stack: false
    .vgpr_count:     115
    .vgpr_spill_count: 0
    .wavefront_size: 32
    .workgroup_processor_mode: 1
amdhsa.target:   amdgcn-amd-amdhsa--gfx1100
amdhsa.version:
  - 1
  - 2
...

	.end_amdgpu_metadata
